;; amdgpu-corpus repo=ROCm/rocFFT kind=compiled arch=gfx906 opt=O3
	.text
	.amdgcn_target "amdgcn-amd-amdhsa--gfx906"
	.amdhsa_code_object_version 6
	.protected	fft_rtc_fwd_len80_factors_10_8_wgs_160_tpt_10_dp_op_CI_CI_sbcc_twdbase6_3step_dirReg ; -- Begin function fft_rtc_fwd_len80_factors_10_8_wgs_160_tpt_10_dp_op_CI_CI_sbcc_twdbase6_3step_dirReg
	.globl	fft_rtc_fwd_len80_factors_10_8_wgs_160_tpt_10_dp_op_CI_CI_sbcc_twdbase6_3step_dirReg
	.p2align	8
	.type	fft_rtc_fwd_len80_factors_10_8_wgs_160_tpt_10_dp_op_CI_CI_sbcc_twdbase6_3step_dirReg,@function
fft_rtc_fwd_len80_factors_10_8_wgs_160_tpt_10_dp_op_CI_CI_sbcc_twdbase6_3step_dirReg: ; @fft_rtc_fwd_len80_factors_10_8_wgs_160_tpt_10_dp_op_CI_CI_sbcc_twdbase6_3step_dirReg
; %bb.0:
	s_load_dwordx2 s[28:29], s[4:5], 0x0
	s_load_dwordx8 s[8:15], s[4:5], 0x8
	s_load_dwordx4 s[16:19], s[4:5], 0x60
	s_load_dwordx2 s[2:3], s[4:5], 0x28
	s_movk_i32 s0, 0xc0
	v_cmp_gt_u32_e32 vcc, s0, v0
	s_and_saveexec_b64 s[4:5], vcc
	s_cbranch_execz .LBB0_3
; %bb.1:
	v_add_co_u32_e32 v1, vcc, 0xffffff60, v0
	v_lshlrev_b32_e32 v5, 4, v0
	v_addc_co_u32_e64 v2, s[0:1], 0, -1, vcc
	s_waitcnt lgkmcnt(0)
	v_mov_b32_e32 v4, s9
	v_add_co_u32_e32 v3, vcc, s8, v5
	v_add_u32_e32 v5, 0, v5
	v_addc_co_u32_e32 v4, vcc, 0, v4, vcc
	v_add_u32_e32 v5, 0x5000, v5
	s_mov_b64 s[8:9], 0
.LBB0_2:                                ; =>This Inner Loop Header: Depth=1
	global_load_dwordx4 v[6:9], v[3:4], off
	v_add_co_u32_e32 v1, vcc, 0xa0, v1
	v_addc_co_u32_e32 v2, vcc, 0, v2, vcc
	v_cmp_lt_u64_e64 s[0:1], 31, v[1:2]
	v_add_co_u32_e32 v3, vcc, 0xa00, v3
	v_addc_co_u32_e32 v4, vcc, 0, v4, vcc
	s_or_b64 s[8:9], s[0:1], s[8:9]
	s_waitcnt vmcnt(0)
	ds_write2_b64 v5, v[6:7], v[8:9] offset1:1
	v_add_u32_e32 v5, 0xa00, v5
	s_andn2_b64 exec, exec, s[8:9]
	s_cbranch_execnz .LBB0_2
.LBB0_3:
	s_or_b64 exec, exec, s[4:5]
	s_waitcnt lgkmcnt(0)
	s_load_dwordx2 s[4:5], s[12:13], 0x8
	s_mov_b32 s7, 0
	s_mov_b64 s[8:9], 0
	s_waitcnt lgkmcnt(0)
	s_add_u32 s0, s4, -1
	s_addc_u32 s1, s5, -1
	s_lshr_b64 s[0:1], s[0:1], 4
	s_add_u32 s34, s0, 1
	s_addc_u32 s35, s1, 0
	v_mov_b32_e32 v1, s34
	v_mov_b32_e32 v2, s35
	v_cmp_lt_u64_e32 vcc, s[6:7], v[1:2]
	s_cbranch_vccnz .LBB0_5
; %bb.4:
	v_cvt_f32_u32_e32 v1, s34
	s_sub_i32 s0, 0, s34
	v_rcp_iflag_f32_e32 v1, v1
	v_mul_f32_e32 v1, 0x4f7ffffe, v1
	v_cvt_u32_f32_e32 v1, v1
	v_readfirstlane_b32 s1, v1
	s_mul_i32 s0, s0, s1
	s_mul_hi_u32 s0, s1, s0
	s_add_i32 s1, s1, s0
	s_mul_hi_u32 s0, s6, s1
	s_mul_i32 s8, s0, s34
	s_sub_i32 s8, s6, s8
	s_add_i32 s1, s0, 1
	s_sub_i32 s9, s8, s34
	s_cmp_ge_u32 s8, s34
	s_cselect_b32 s0, s1, s0
	s_cselect_b32 s8, s9, s8
	s_add_i32 s1, s0, 1
	s_cmp_ge_u32 s8, s34
	s_cselect_b32 s8, s1, s0
	s_mov_b32 s9, s7
.LBB0_5:
	s_load_dwordx4 s[24:27], s[14:15], 0x0
	s_mul_i32 s0, s8, s35
	s_mul_hi_u32 s1, s8, s34
	s_add_i32 s1, s1, s0
	s_mul_i32 s0, s8, s34
	s_sub_u32 s0, s6, s0
	s_subb_u32 s1, 0, s1
	v_mov_b32_e32 v1, s0
	s_load_dwordx4 s[20:23], s[2:3], 0x0
	v_alignbit_b32 v1, s1, v1, 28
	s_waitcnt lgkmcnt(0)
	v_mul_lo_u32 v2, s26, v1
	s_lshl_b64 s[30:31], s[0:1], 4
	s_mul_hi_u32 s0, s26, s30
	v_mul_lo_u32 v1, s22, v1
	v_add_u32_e32 v2, s0, v2
	s_mul_i32 s0, s27, s30
	v_add_u32_e32 v3, s0, v2
	s_mul_i32 s0, s26, s30
	v_mov_b32_e32 v4, s0
	s_mul_hi_u32 s0, s22, s30
	v_add_u32_e32 v1, s0, v1
	s_mul_i32 s0, s23, s30
	v_add_u32_e32 v58, s0, v1
	v_cmp_lt_u64_e64 s[0:1], s[10:11], 3
	s_mul_i32 s33, s22, s30
	v_mov_b32_e32 v57, s33
	s_and_b64 vcc, exec, s[0:1]
	s_cbranch_vccnz .LBB0_14
; %bb.6:
	s_add_u32 s36, s2, 16
	s_addc_u32 s37, s3, 0
	s_add_u32 s38, s14, 16
	s_addc_u32 s39, s15, 0
	s_add_u32 s12, s12, 16
	v_mov_b32_e32 v1, s10
	s_addc_u32 s13, s13, 0
	s_mov_b64 s[40:41], 2
	s_mov_b32 s42, 0
	v_mov_b32_e32 v2, s11
	s_branch .LBB0_8
.LBB0_7:                                ;   in Loop: Header=BB0_8 Depth=1
	s_mul_i32 s33, s44, s35
	s_mul_hi_u32 s35, s44, s34
	s_add_i32 s33, s35, s33
	s_mul_i32 s35, s45, s34
	s_add_i32 s35, s33, s35
	s_mul_i32 s33, s0, s45
	s_mul_hi_u32 s43, s0, s44
	s_load_dwordx2 s[46:47], s[38:39], 0x0
	s_add_i32 s33, s43, s33
	s_mul_i32 s43, s1, s44
	s_add_i32 s33, s33, s43
	s_mul_i32 s43, s0, s44
	s_sub_u32 s43, s8, s43
	s_subb_u32 s33, s9, s33
	s_waitcnt lgkmcnt(0)
	s_mul_i32 s8, s46, s33
	s_mul_hi_u32 s9, s46, s43
	s_add_i32 s8, s9, s8
	s_mul_i32 s9, s47, s43
	s_add_i32 s8, s8, s9
	v_mov_b32_e32 v5, s8
	s_load_dwordx2 s[8:9], s[36:37], 0x0
	s_mul_i32 s34, s44, s34
	s_mul_i32 s44, s46, s43
	v_add_co_u32_e32 v4, vcc, s44, v4
	s_waitcnt lgkmcnt(0)
	s_mul_i32 s33, s8, s33
	s_mul_hi_u32 s44, s8, s43
	s_add_i32 s33, s44, s33
	s_mul_i32 s9, s9, s43
	s_add_i32 s9, s33, s9
	s_add_u32 s40, s40, 1
	s_addc_u32 s41, s41, 0
	v_addc_co_u32_e32 v3, vcc, v5, v3, vcc
	s_mul_i32 s8, s8, s43
	s_add_u32 s36, s36, 8
	v_mov_b32_e32 v5, s9
	v_add_co_u32_e32 v57, vcc, s8, v57
	s_addc_u32 s37, s37, 0
	v_addc_co_u32_e32 v58, vcc, v5, v58, vcc
	s_add_u32 s38, s38, 8
	s_addc_u32 s39, s39, 0
	v_cmp_ge_u64_e32 vcc, s[40:41], v[1:2]
	s_add_u32 s12, s12, 8
	s_addc_u32 s13, s13, 0
	s_mov_b64 s[8:9], s[0:1]
	s_cbranch_vccnz .LBB0_12
.LBB0_8:                                ; =>This Inner Loop Header: Depth=1
	s_load_dwordx2 s[44:45], s[12:13], 0x0
	s_waitcnt lgkmcnt(0)
	s_or_b64 s[0:1], s[8:9], s[44:45]
	s_mov_b32 s43, s1
	s_cmp_lg_u64 s[42:43], 0
	s_cbranch_scc0 .LBB0_10
; %bb.9:                                ;   in Loop: Header=BB0_8 Depth=1
	v_cvt_f32_u32_e32 v5, s44
	v_cvt_f32_u32_e32 v6, s45
	s_sub_u32 s0, 0, s44
	s_subb_u32 s1, 0, s45
	v_mac_f32_e32 v5, 0x4f800000, v6
	v_rcp_f32_e32 v5, v5
	v_mul_f32_e32 v5, 0x5f7ffffc, v5
	v_mul_f32_e32 v6, 0x2f800000, v5
	v_trunc_f32_e32 v6, v6
	v_mac_f32_e32 v5, 0xcf800000, v6
	v_cvt_u32_f32_e32 v6, v6
	v_cvt_u32_f32_e32 v5, v5
	v_readfirstlane_b32 s33, v6
	v_readfirstlane_b32 s43, v5
	s_mul_i32 s46, s0, s33
	s_mul_hi_u32 s48, s0, s43
	s_mul_i32 s47, s1, s43
	s_add_i32 s46, s48, s46
	s_mul_i32 s49, s0, s43
	s_add_i32 s46, s46, s47
	s_mul_hi_u32 s47, s43, s46
	s_mul_i32 s48, s43, s46
	s_mul_hi_u32 s43, s43, s49
	s_add_u32 s43, s43, s48
	s_addc_u32 s47, 0, s47
	s_mul_hi_u32 s50, s33, s49
	s_mul_i32 s49, s33, s49
	s_add_u32 s43, s43, s49
	s_mul_hi_u32 s48, s33, s46
	s_addc_u32 s43, s47, s50
	s_addc_u32 s47, s48, 0
	s_mul_i32 s46, s33, s46
	s_add_u32 s43, s43, s46
	s_addc_u32 s46, 0, s47
	v_add_co_u32_e32 v5, vcc, s43, v5
	s_cmp_lg_u64 vcc, 0
	s_addc_u32 s33, s33, s46
	v_readfirstlane_b32 s46, v5
	s_mul_i32 s43, s0, s33
	s_mul_hi_u32 s47, s0, s46
	s_add_i32 s43, s47, s43
	s_mul_i32 s1, s1, s46
	s_add_i32 s43, s43, s1
	s_mul_i32 s0, s0, s46
	s_mul_hi_u32 s47, s33, s0
	s_mul_i32 s48, s33, s0
	s_mul_i32 s50, s46, s43
	s_mul_hi_u32 s0, s46, s0
	s_mul_hi_u32 s49, s46, s43
	s_add_u32 s0, s0, s50
	s_addc_u32 s46, 0, s49
	s_add_u32 s0, s0, s48
	s_mul_hi_u32 s1, s33, s43
	s_addc_u32 s0, s46, s47
	s_addc_u32 s1, s1, 0
	s_mul_i32 s43, s33, s43
	s_add_u32 s0, s0, s43
	s_addc_u32 s1, 0, s1
	v_add_co_u32_e32 v5, vcc, s0, v5
	s_cmp_lg_u64 vcc, 0
	s_addc_u32 s0, s33, s1
	v_readfirstlane_b32 s43, v5
	s_mul_i32 s33, s8, s0
	s_mul_hi_u32 s46, s8, s43
	s_mul_hi_u32 s1, s8, s0
	s_add_u32 s33, s46, s33
	s_addc_u32 s1, 0, s1
	s_mul_hi_u32 s47, s9, s43
	s_mul_i32 s43, s9, s43
	s_add_u32 s33, s33, s43
	s_mul_hi_u32 s46, s9, s0
	s_addc_u32 s1, s1, s47
	s_addc_u32 s33, s46, 0
	s_mul_i32 s0, s9, s0
	s_add_u32 s43, s1, s0
	s_addc_u32 s33, 0, s33
	s_mul_i32 s0, s44, s33
	s_mul_hi_u32 s1, s44, s43
	s_add_i32 s0, s1, s0
	s_mul_i32 s1, s45, s43
	s_add_i32 s46, s0, s1
	s_mul_i32 s1, s44, s43
	v_mov_b32_e32 v5, s1
	s_sub_i32 s0, s9, s46
	v_sub_co_u32_e32 v5, vcc, s8, v5
	s_cmp_lg_u64 vcc, 0
	s_subb_u32 s47, s0, s45
	v_subrev_co_u32_e64 v6, s[0:1], s44, v5
	s_cmp_lg_u64 s[0:1], 0
	s_subb_u32 s0, s47, 0
	s_cmp_ge_u32 s0, s45
	v_readfirstlane_b32 s47, v6
	s_cselect_b32 s1, -1, 0
	s_cmp_ge_u32 s47, s44
	s_cselect_b32 s47, -1, 0
	s_cmp_eq_u32 s0, s45
	s_cselect_b32 s0, s47, s1
	s_add_u32 s1, s43, 1
	s_addc_u32 s47, s33, 0
	s_add_u32 s48, s43, 2
	s_addc_u32 s49, s33, 0
	s_cmp_lg_u32 s0, 0
	s_cselect_b32 s0, s48, s1
	s_cselect_b32 s1, s49, s47
	s_cmp_lg_u64 vcc, 0
	s_subb_u32 s46, s9, s46
	s_cmp_ge_u32 s46, s45
	v_readfirstlane_b32 s48, v5
	s_cselect_b32 s47, -1, 0
	s_cmp_ge_u32 s48, s44
	s_cselect_b32 s48, -1, 0
	s_cmp_eq_u32 s46, s45
	s_cselect_b32 s46, s48, s47
	s_cmp_lg_u32 s46, 0
	s_cselect_b32 s1, s1, s33
	s_cselect_b32 s0, s0, s43
	s_cbranch_execnz .LBB0_7
	s_branch .LBB0_11
.LBB0_10:                               ;   in Loop: Header=BB0_8 Depth=1
                                        ; implicit-def: $sgpr0_sgpr1
.LBB0_11:                               ;   in Loop: Header=BB0_8 Depth=1
	v_cvt_f32_u32_e32 v5, s44
	s_sub_i32 s0, 0, s44
	v_rcp_iflag_f32_e32 v5, v5
	v_mul_f32_e32 v5, 0x4f7ffffe, v5
	v_cvt_u32_f32_e32 v5, v5
	v_readfirstlane_b32 s1, v5
	s_mul_i32 s0, s0, s1
	s_mul_hi_u32 s0, s1, s0
	s_add_i32 s1, s1, s0
	s_mul_hi_u32 s0, s8, s1
	s_mul_i32 s33, s0, s44
	s_sub_i32 s33, s8, s33
	s_add_i32 s1, s0, 1
	s_sub_i32 s43, s33, s44
	s_cmp_ge_u32 s33, s44
	s_cselect_b32 s0, s1, s0
	s_cselect_b32 s33, s43, s33
	s_add_i32 s1, s0, 1
	s_cmp_ge_u32 s33, s44
	s_cselect_b32 s0, s1, s0
	s_mov_b32 s1, s42
	s_branch .LBB0_7
.LBB0_12:
	v_mov_b32_e32 v1, s34
	v_mov_b32_e32 v2, s35
	v_cmp_lt_u64_e32 vcc, s[6:7], v[1:2]
	s_mov_b64 s[8:9], 0
	s_cbranch_vccnz .LBB0_14
; %bb.13:
	v_cvt_f32_u32_e32 v1, s34
	s_sub_i32 s0, 0, s34
	v_rcp_iflag_f32_e32 v1, v1
	v_mul_f32_e32 v1, 0x4f7ffffe, v1
	v_cvt_u32_f32_e32 v1, v1
	v_readfirstlane_b32 s1, v1
	s_mul_i32 s0, s0, s1
	s_mul_hi_u32 s0, s1, s0
	s_add_i32 s1, s1, s0
	s_mul_hi_u32 s0, s6, s1
	s_mul_i32 s7, s0, s34
	s_sub_i32 s6, s6, s7
	s_add_i32 s1, s0, 1
	s_sub_i32 s7, s6, s34
	s_cmp_ge_u32 s6, s34
	s_cselect_b32 s0, s1, s0
	s_cselect_b32 s6, s7, s6
	s_add_i32 s1, s0, 1
	s_cmp_ge_u32 s6, s34
	s_cselect_b32 s8, s1, s0
.LBB0_14:
	s_lshl_b64 s[0:1], s[10:11], 3
	s_add_u32 s6, s14, s0
	s_addc_u32 s7, s15, s1
	s_load_dwordx2 s[6:7], s[6:7], 0x0
	v_lshrrev_b32_e32 v43, 4, v0
	v_and_b32_e32 v61, 15, v0
	v_or_b32_e32 v51, 8, v43
	v_or_b32_e32 v50, 16, v43
	s_waitcnt lgkmcnt(0)
	s_mul_i32 s7, s7, s8
	s_mul_hi_u32 s9, s6, s8
	s_mul_i32 s6, s6, s8
	s_add_i32 s7, s9, s7
	v_add_co_u32_e32 v1, vcc, s6, v4
	s_add_u32 s6, s2, s0
	v_mov_b32_e32 v2, s7
	s_addc_u32 s7, s3, s1
	v_addc_co_u32_e32 v2, vcc, v2, v3, vcc
	s_add_u32 s0, s30, 16
	v_mov_b32_e32 v3, s4
	s_addc_u32 s1, s31, 0
	v_mov_b32_e32 v4, s5
	v_cmp_le_u64_e32 vcc, s[0:1], v[3:4]
	s_movk_i32 s0, 0x80
	v_cmp_gt_u32_e64 s[2:3], s0, v0
	v_lshlrev_b64 v[41:42], 4, v[1:2]
	s_and_b64 s[0:1], s[2:3], vcc
	v_or_b32_e32 v49, 24, v43
	v_or_b32_e32 v48, 32, v43
	;; [unrolled: 1-line block ×6, first 2 shown]
                                        ; implicit-def: $vgpr15_vgpr16
                                        ; implicit-def: $vgpr31_vgpr32
                                        ; implicit-def: $vgpr11_vgpr12
                                        ; implicit-def: $vgpr35_vgpr36
                                        ; implicit-def: $vgpr27_vgpr28
                                        ; implicit-def: $vgpr23_vgpr24
                                        ; implicit-def: $vgpr19_vgpr20
                                        ; implicit-def: $vgpr39_vgpr40
                                        ; implicit-def: $vgpr7_vgpr8
                                        ; implicit-def: $vgpr3_vgpr4
	s_and_saveexec_b64 s[10:11], s[0:1]
	s_cbranch_execz .LBB0_16
; %bb.15:
	v_mad_u64_u32 v[1:2], s[0:1], s26, v61, 0
	v_mad_u64_u32 v[3:4], s[0:1], s24, v43, 0
	;; [unrolled: 1-line block ×3, first 2 shown]
	v_mov_b32_e32 v2, v4
	v_mad_u64_u32 v[6:7], s[0:1], s25, v43, v[2:3]
	v_mov_b32_e32 v2, v5
	v_mov_b32_e32 v5, s17
	v_add_co_u32_e64 v7, s[0:1], s16, v41
	v_mov_b32_e32 v4, v6
	v_addc_co_u32_e64 v8, s[0:1], v5, v42, s[0:1]
	v_mad_u64_u32 v[5:6], s[0:1], s24, v51, 0
	v_lshlrev_b64 v[1:2], 4, v[1:2]
	v_add_co_u32_e64 v9, s[0:1], v7, v1
	v_addc_co_u32_e64 v10, s[0:1], v8, v2, s[0:1]
	v_lshlrev_b64 v[1:2], 4, v[3:4]
	v_mov_b32_e32 v3, v6
	v_mad_u64_u32 v[3:4], s[0:1], s25, v51, v[3:4]
	v_mad_u64_u32 v[7:8], s[0:1], s24, v50, 0
	v_add_co_u32_e64 v52, s[0:1], v9, v1
	v_mov_b32_e32 v6, v3
	v_mov_b32_e32 v3, v8
	v_addc_co_u32_e64 v53, s[0:1], v10, v2, s[0:1]
	v_mad_u64_u32 v[3:4], s[0:1], s25, v50, v[3:4]
	v_lshlrev_b64 v[1:2], 4, v[5:6]
	v_mad_u64_u32 v[4:5], s[0:1], s24, v49, 0
	v_add_co_u32_e64 v54, s[0:1], v9, v1
	v_mov_b32_e32 v8, v3
	v_mov_b32_e32 v3, v5
	v_addc_co_u32_e64 v55, s[0:1], v10, v2, s[0:1]
	v_mad_u64_u32 v[5:6], s[0:1], s25, v49, v[3:4]
	v_lshlrev_b64 v[1:2], 4, v[7:8]
	v_mad_u64_u32 v[6:7], s[0:1], s24, v48, 0
	v_add_co_u32_e64 v59, s[0:1], v9, v1
	v_mov_b32_e32 v3, v7
	v_addc_co_u32_e64 v60, s[0:1], v10, v2, s[0:1]
	v_lshlrev_b64 v[1:2], 4, v[4:5]
	v_mad_u64_u32 v[3:4], s[0:1], s25, v48, v[3:4]
	v_mad_u64_u32 v[4:5], s[0:1], s24, v47, 0
	v_add_co_u32_e64 v62, s[0:1], v9, v1
	v_mov_b32_e32 v7, v3
	v_mov_b32_e32 v3, v5
	v_addc_co_u32_e64 v63, s[0:1], v10, v2, s[0:1]
	v_lshlrev_b64 v[1:2], 4, v[6:7]
	v_mad_u64_u32 v[5:6], s[0:1], s25, v47, v[3:4]
	v_mad_u64_u32 v[6:7], s[0:1], s24, v46, 0
	v_add_co_u32_e64 v64, s[0:1], v9, v1
	v_mov_b32_e32 v3, v7
	v_addc_co_u32_e64 v65, s[0:1], v10, v2, s[0:1]
	v_lshlrev_b64 v[1:2], 4, v[4:5]
	v_mad_u64_u32 v[3:4], s[0:1], s25, v46, v[3:4]
	v_mad_u64_u32 v[4:5], s[0:1], s24, v45, 0
	v_add_co_u32_e64 v66, s[0:1], v9, v1
	v_mov_b32_e32 v7, v3
	v_mov_b32_e32 v3, v5
	v_addc_co_u32_e64 v67, s[0:1], v10, v2, s[0:1]
	v_lshlrev_b64 v[1:2], 4, v[6:7]
	v_mad_u64_u32 v[5:6], s[0:1], s25, v45, v[3:4]
	v_mad_u64_u32 v[6:7], s[0:1], s24, v44, 0
	v_add_co_u32_e64 v68, s[0:1], v9, v1
	v_mov_b32_e32 v3, v7
	v_addc_co_u32_e64 v69, s[0:1], v10, v2, s[0:1]
	v_lshlrev_b64 v[1:2], 4, v[4:5]
	v_mad_u64_u32 v[3:4], s[0:1], s25, v44, v[3:4]
	v_or_b32_e32 v8, 0x48, v43
	v_mad_u64_u32 v[4:5], s[0:1], s24, v8, 0
	v_add_co_u32_e64 v70, s[0:1], v9, v1
	v_mov_b32_e32 v7, v3
	v_mov_b32_e32 v3, v5
	v_addc_co_u32_e64 v71, s[0:1], v10, v2, s[0:1]
	v_lshlrev_b64 v[1:2], 4, v[6:7]
	v_mad_u64_u32 v[5:6], s[0:1], s25, v8, v[3:4]
	v_add_co_u32_e64 v72, s[0:1], v9, v1
	v_addc_co_u32_e64 v73, s[0:1], v10, v2, s[0:1]
	v_lshlrev_b64 v[1:2], 4, v[4:5]
	v_add_co_u32_e64 v74, s[0:1], v9, v1
	v_addc_co_u32_e64 v75, s[0:1], v10, v2, s[0:1]
	global_load_dwordx4 v[1:4], v[52:53], off
	global_load_dwordx4 v[13:16], v[54:55], off
	;; [unrolled: 1-line block ×10, first 2 shown]
.LBB0_16:
	s_or_b64 exec, exec, s[10:11]
	v_mov_b32_e32 v60, s31
	v_or_b32_e32 v59, s30, v61
	v_cmp_gt_u64_e64 s[0:1], s[4:5], v[59:60]
	s_xor_b64 s[4:5], vcc, -1
	s_and_b64 s[10:11], s[2:3], s[0:1]
	s_and_b64 s[4:5], s[4:5], s[10:11]
	s_and_saveexec_b64 s[10:11], s[4:5]
	s_cbranch_execz .LBB0_18
; %bb.17:
	s_waitcnt vmcnt(9)
	v_mad_u64_u32 v[1:2], s[4:5], s26, v61, 0
	v_mad_u64_u32 v[3:4], s[4:5], s24, v43, 0
	s_waitcnt vmcnt(7)
	v_mad_u64_u32 v[5:6], s[4:5], s27, v61, v[2:3]
	v_mov_b32_e32 v2, v4
	v_mad_u64_u32 v[6:7], s[4:5], s25, v43, v[2:3]
	v_mov_b32_e32 v2, v5
	v_mov_b32_e32 v5, s17
	v_add_co_u32_e64 v7, s[4:5], s16, v41
	v_mov_b32_e32 v4, v6
	v_addc_co_u32_e64 v8, s[4:5], v5, v42, s[4:5]
	v_mad_u64_u32 v[5:6], s[4:5], s24, v51, 0
	v_lshlrev_b64 v[1:2], 4, v[1:2]
	v_add_co_u32_e64 v52, s[4:5], v7, v1
	v_addc_co_u32_e64 v53, s[4:5], v8, v2, s[4:5]
	v_lshlrev_b64 v[1:2], 4, v[3:4]
	v_mov_b32_e32 v3, v6
	v_mad_u64_u32 v[3:4], s[4:5], s25, v51, v[3:4]
	v_add_co_u32_e64 v7, s[4:5], v52, v1
	v_mov_b32_e32 v6, v3
	v_addc_co_u32_e64 v8, s[4:5], v53, v2, s[4:5]
	v_lshlrev_b64 v[1:2], 4, v[5:6]
	v_mad_u64_u32 v[5:6], s[4:5], s24, v50, 0
	s_waitcnt vmcnt(5)
	v_add_co_u32_e64 v9, s[4:5], v52, v1
	v_mov_b32_e32 v1, v6
	v_addc_co_u32_e64 v10, s[4:5], v53, v2, s[4:5]
	v_mad_u64_u32 v[11:12], s[4:5], s25, v50, v[1:2]
	s_waitcnt vmcnt(2)
	v_mad_u64_u32 v[17:18], s[4:5], s24, v49, 0
	global_load_dwordx4 v[1:4], v[7:8], off
	global_load_dwordx4 v[13:16], v[9:10], off
	v_mov_b32_e32 v6, v11
	v_mov_b32_e32 v7, v18
	v_lshlrev_b64 v[5:6], 4, v[5:6]
	v_mad_u64_u32 v[7:8], s[4:5], s25, v49, v[7:8]
	v_add_co_u32_e64 v9, s[4:5], v52, v5
	v_addc_co_u32_e64 v10, s[4:5], v53, v6, s[4:5]
	v_mad_u64_u32 v[11:12], s[4:5], s24, v48, 0
	v_mov_b32_e32 v18, v7
	v_lshlrev_b64 v[5:6], 4, v[17:18]
	v_add_co_u32_e64 v17, s[4:5], v52, v5
	v_mov_b32_e32 v5, v12
	v_addc_co_u32_e64 v18, s[4:5], v53, v6, s[4:5]
	v_mad_u64_u32 v[19:20], s[4:5], s25, v48, v[5:6]
	s_waitcnt vmcnt(3)
	v_mad_u64_u32 v[20:21], s[4:5], s24, v47, 0
	v_mov_b32_e32 v12, v19
	global_load_dwordx4 v[5:8], v[9:10], off
	global_load_dwordx4 v[29:32], v[17:18], off
	v_lshlrev_b64 v[9:10], 4, v[11:12]
	v_mov_b32_e32 v11, v21
	v_mad_u64_u32 v[11:12], s[4:5], s25, v47, v[11:12]
	v_add_co_u32_e64 v17, s[4:5], v52, v9
	v_mov_b32_e32 v21, v11
	v_addc_co_u32_e64 v18, s[4:5], v53, v10, s[4:5]
	v_lshlrev_b64 v[9:10], 4, v[20:21]
	v_mad_u64_u32 v[19:20], s[4:5], s24, v46, 0
	v_add_co_u32_e64 v21, s[4:5], v52, v9
	v_mov_b32_e32 v9, v20
	v_addc_co_u32_e64 v22, s[4:5], v53, v10, s[4:5]
	v_mad_u64_u32 v[23:24], s[4:5], s25, v46, v[9:10]
	s_waitcnt vmcnt(4)
	v_mad_u64_u32 v[24:25], s[4:5], s24, v45, 0
	v_mov_b32_e32 v20, v23
	global_load_dwordx4 v[9:12], v[17:18], off
	global_load_dwordx4 v[37:40], v[21:22], off
	v_lshlrev_b64 v[17:18], 4, v[19:20]
	v_mov_b32_e32 v19, v25
	v_mad_u64_u32 v[19:20], s[4:5], s25, v45, v[19:20]
	v_add_co_u32_e64 v21, s[4:5], v52, v17
	v_mov_b32_e32 v25, v19
	v_addc_co_u32_e64 v22, s[4:5], v53, v18, s[4:5]
	v_lshlrev_b64 v[17:18], 4, v[24:25]
	v_mad_u64_u32 v[23:24], s[4:5], s24, v44, 0
	v_add_co_u32_e64 v25, s[4:5], v52, v17
	v_mov_b32_e32 v17, v24
	v_addc_co_u32_e64 v26, s[4:5], v53, v18, s[4:5]
	v_mad_u64_u32 v[27:28], s[4:5], s25, v44, v[17:18]
	v_or_b32_e32 v28, 0x48, v43
	v_mad_u64_u32 v[41:42], s[4:5], s24, v28, 0
	v_mov_b32_e32 v24, v27
	global_load_dwordx4 v[33:36], v[21:22], off
	global_load_dwordx4 v[17:20], v[25:26], off
	v_lshlrev_b64 v[21:22], 4, v[23:24]
	v_mov_b32_e32 v23, v42
	v_mad_u64_u32 v[23:24], s[4:5], s25, v28, v[23:24]
	v_add_co_u32_e64 v44, s[4:5], v52, v21
	v_mov_b32_e32 v42, v23
	v_addc_co_u32_e64 v45, s[4:5], v53, v22, s[4:5]
	v_lshlrev_b64 v[21:22], 4, v[41:42]
	v_add_co_u32_e64 v41, s[4:5], v52, v21
	v_addc_co_u32_e64 v42, s[4:5], v53, v22, s[4:5]
	global_load_dwordx4 v[21:24], v[44:45], off
	global_load_dwordx4 v[25:28], v[41:42], off
.LBB0_18:
	s_or_b64 exec, exec, s[10:11]
	v_lshlrev_b32_e32 v41, 4, v61
	s_and_saveexec_b64 s[4:5], s[2:3]
	s_cbranch_execz .LBB0_20
; %bb.19:
	s_waitcnt vmcnt(5)
	v_add_f64 v[44:45], v[7:8], -v[11:12]
	s_waitcnt vmcnt(1)
	v_add_f64 v[46:47], v[23:24], -v[35:36]
	v_add_f64 v[48:49], v[17:18], v[37:38]
	s_waitcnt vmcnt(0)
	v_add_f64 v[52:53], v[29:30], v[25:26]
	v_add_f64 v[62:63], v[29:30], -v[37:38]
	v_add_f64 v[64:65], v[25:26], -v[17:18]
	v_add_f64 v[68:69], v[15:16], v[31:32]
	v_add_f64 v[50:51], v[19:20], v[39:40]
	;; [unrolled: 1-line block ×4, first 2 shown]
	v_fma_f64 v[46:47], v[48:49], -0.5, v[13:14]
	v_add_f64 v[48:49], v[31:32], -v[39:40]
	v_add_f64 v[66:67], v[27:28], -v[19:20]
	v_add_f64 v[70:71], v[13:14], v[29:30]
	v_fma_f64 v[13:14], v[52:53], -0.5, v[13:14]
	v_add_f64 v[52:53], v[64:65], v[62:63]
	v_add_f64 v[64:65], v[68:69], v[39:40]
	;; [unrolled: 1-line block ×3, first 2 shown]
	v_fma_f64 v[50:51], v[50:51], -0.5, v[15:16]
	v_fma_f64 v[15:16], v[54:55], -0.5, v[15:16]
	v_add_f64 v[54:55], v[39:40], -v[19:20]
	v_add_f64 v[48:49], v[66:67], v[48:49]
	v_add_f64 v[62:63], v[37:38], -v[17:18]
	v_add_f64 v[66:67], v[70:71], v[37:38]
	v_add_f64 v[70:71], v[11:12], -v[7:8]
	v_add_f64 v[72:73], v[35:36], -v[23:24]
	;; [unrolled: 1-line block ×4, first 2 shown]
	v_fma_f64 v[68:69], v[68:69], -0.5, v[3:4]
	v_add_f64 v[76:77], v[9:10], -v[33:34]
	s_mov_b32 s2, 0x134454ff
	s_mov_b32 s3, 0x3fee6f0e
	;; [unrolled: 1-line block ×4, first 2 shown]
	v_add_f64 v[37:38], v[37:38], -v[29:30]
	v_add_f64 v[29:30], v[29:30], -v[25:26]
	v_add_f64 v[70:71], v[72:73], v[70:71]
	v_add_f64 v[72:73], v[17:18], -v[25:26]
	v_add_f64 v[39:40], v[74:75], v[39:40]
	v_fma_f64 v[74:75], v[76:77], s[12:13], v[68:69]
	v_fma_f64 v[68:69], v[76:77], s[2:3], v[68:69]
	v_add_f64 v[78:79], v[5:6], -v[21:22]
	v_fma_f64 v[80:81], v[62:63], s[12:13], v[15:16]
	v_fma_f64 v[15:16], v[62:63], s[2:3], v[15:16]
	v_add_f64 v[82:83], v[11:12], v[35:36]
	s_mov_b32 s10, 0x4755a5e
	s_mov_b32 s11, 0x3fe2cf23
	;; [unrolled: 1-line block ×4, first 2 shown]
	v_add_f64 v[31:32], v[31:32], -v[27:28]
	v_fma_f64 v[74:75], v[78:79], s[10:11], v[74:75]
	v_fma_f64 v[68:69], v[78:79], s[16:17], v[68:69]
	;; [unrolled: 1-line block ×4, first 2 shown]
	v_add_f64 v[37:38], v[72:73], v[37:38]
	v_fma_f64 v[72:73], v[82:83], -0.5, v[3:4]
	s_mov_b32 s14, 0x372fe950
	s_mov_b32 s15, 0x3fd3c6ef
	v_fma_f64 v[74:75], v[70:71], s[14:15], v[74:75]
	v_fma_f64 v[68:69], v[70:71], s[14:15], v[68:69]
	;; [unrolled: 1-line block ×20, first 2 shown]
	v_add_f64 v[54:55], v[9:10], v[33:34]
	v_add_f64 v[3:4], v[7:8], v[3:4]
	;; [unrolled: 1-line block ×3, first 2 shown]
	v_fma_f64 v[39:40], v[37:38], s[14:15], v[39:40]
	v_fma_f64 v[13:14], v[37:38], s[14:15], v[13:14]
	;; [unrolled: 1-line block ×8, first 2 shown]
	v_add_f64 v[50:51], v[5:6], v[1:2]
	v_add_f64 v[3:4], v[11:12], v[3:4]
	v_fma_f64 v[52:53], v[54:55], -0.5, v[1:2]
	v_fma_f64 v[1:2], v[62:63], -0.5, v[1:2]
	v_add_f64 v[11:12], v[11:12], -v[35:36]
	s_mov_b32 s24, 0x9b97f4a8
	s_mov_b32 s25, 0x3fe9e377
	v_add_f64 v[72:73], v[5:6], -v[9:10]
	v_add_f64 v[7:8], v[7:8], -v[23:24]
	;; [unrolled: 1-line block ×3, first 2 shown]
	v_add_f64 v[9:10], v[9:10], v[50:51]
	v_add_f64 v[35:36], v[35:36], v[3:4]
	v_mul_f64 v[3:4], v[44:45], s[24:25]
	v_add_f64 v[50:51], v[33:34], -v[21:22]
	v_fma_f64 v[62:63], v[11:12], s[2:3], v[1:2]
	v_fma_f64 v[1:2], v[11:12], s[12:13], v[1:2]
	v_add_f64 v[76:77], v[21:22], -v[33:34]
	v_mul_f64 v[78:79], v[39:40], s[14:15]
	v_add_f64 v[9:10], v[33:34], v[9:10]
	v_add_f64 v[23:24], v[23:24], v[35:36]
	v_fma_f64 v[33:34], v[48:49], s[16:17], -v[3:4]
	v_add_f64 v[3:4], v[50:51], v[5:6]
	v_fma_f64 v[5:6], v[7:8], s[16:17], v[62:63]
	v_fma_f64 v[1:2], v[7:8], s[10:11], v[1:2]
	;; [unrolled: 1-line block ×4, first 2 shown]
	v_mul_f64 v[50:51], v[13:14], s[12:13]
	v_add_f64 v[54:55], v[76:77], v[72:73]
	v_mul_f64 v[72:73], v[48:49], s[24:25]
	v_mul_f64 v[76:77], v[70:71], s[14:15]
	v_fma_f64 v[48:49], v[70:71], s[2:3], -v[78:79]
	v_fma_f64 v[52:53], v[3:4], s[14:15], v[5:6]
	v_fma_f64 v[70:71], v[3:4], s[14:15], v[1:2]
	v_add_f64 v[1:2], v[19:20], v[64:65]
	v_add_f64 v[5:6], v[17:18], v[66:67]
	v_fma_f64 v[17:18], v[11:12], s[16:17], v[62:63]
	v_fma_f64 v[19:20], v[11:12], s[10:11], v[7:8]
	v_mul_f64 v[62:63], v[46:47], s[16:17]
	v_add_f64 v[9:10], v[21:22], v[9:10]
	v_mul_f64 v[21:22], v[46:47], s[24:25]
	v_fma_f64 v[50:51], v[15:16], s[14:15], v[50:51]
	v_mul_f64 v[15:16], v[15:16], s[2:3]
	v_add_f64 v[1:2], v[27:28], v[1:2]
	v_add_f64 v[5:6], v[25:26], v[5:6]
	v_fma_f64 v[39:40], v[39:40], s[12:13], -v[76:77]
	v_fma_f64 v[25:26], v[29:30], s[24:25], v[62:63]
	v_fma_f64 v[46:47], v[54:55], s[14:15], v[17:18]
	;; [unrolled: 1-line block ×5, first 2 shown]
	v_fma_f64 v[44:45], v[44:45], s[10:11], -v[72:73]
	v_add_f64 v[19:20], v[1:2], v[23:24]
	v_add_f64 v[17:18], v[5:6], v[9:10]
	v_add_f64 v[3:4], v[31:32], -v[33:34]
	v_add_f64 v[7:8], v[74:75], -v[39:40]
	;; [unrolled: 1-line block ×4, first 2 shown]
	v_add_f64 v[27:28], v[31:32], v[33:34]
	v_add_f64 v[31:32], v[74:75], v[39:40]
	;; [unrolled: 1-line block ×6, first 2 shown]
	v_add_f64 v[21:22], v[54:55], -v[29:30]
	v_add_f64 v[29:30], v[48:49], v[52:53]
	v_add_f64 v[25:26], v[46:47], v[44:45]
	v_add_f64 v[13:14], v[9:10], -v[5:6]
	v_mul_u32_u24_e32 v42, 0xa0, v43
	v_lshlrev_b32_e32 v42, 4, v42
	v_add_f64 v[11:12], v[68:69], -v[50:51]
	v_add_f64 v[9:10], v[70:71], -v[62:63]
	v_add3_u32 v42, 0, v42, v41
	v_add_f64 v[1:2], v[46:47], -v[44:45]
	v_add_f64 v[5:6], v[52:53], -v[48:49]
	ds_write_b128 v42, v[17:20]
	ds_write_b128 v42, v[37:40] offset:256
	ds_write_b128 v42, v[33:36] offset:512
	;; [unrolled: 1-line block ×9, first 2 shown]
.LBB0_20:
	s_or_b64 exec, exec, s[4:5]
	s_or_b64 s[0:1], vcc, s[0:1]
	s_waitcnt vmcnt(0) lgkmcnt(0)
	s_barrier
	s_and_saveexec_b64 s[2:3], s[0:1]
	s_cbranch_execz .LBB0_22
; %bb.21:
	s_mov_b32 s0, 0x1999999a
	v_mul_hi_u32 v1, v43, s0
	v_mul_lo_u32 v62, v59, -10
	s_add_i32 s0, 0, 0x5000
	s_mov_b32 s3, 0xbfe6a09e
	v_mul_u32_u24_e32 v1, 10, v1
	v_sub_u32_e32 v60, v43, v1
	v_mul_u32_u24_e32 v1, 7, v60
	v_lshlrev_b32_e32 v29, 4, v1
	global_load_dwordx4 v[1:4], v29, s[28:29]
	global_load_dwordx4 v[25:28], v29, s[28:29] offset:64
	global_load_dwordx4 v[21:24], v29, s[28:29] offset:32
	;; [unrolled: 1-line block ×6, first 2 shown]
	v_add_u32_e32 v45, 0x46, v60
	v_mul_lo_u32 v64, v45, v59
	v_lshlrev_b32_e32 v29, 8, v43
	v_add3_u32 v63, 0, v29, v41
	ds_read_b128 v[29:32], v63 offset:12800
	ds_read_b128 v[33:36], v63 offset:10240
	;; [unrolled: 1-line block ×4, first 2 shown]
	v_add_u32_e32 v70, v64, v62
	v_lshrrev_b32_e32 v69, 2, v64
	v_lshrrev_b32_e32 v72, 2, v70
	ds_read_b128 v[49:52], v63 offset:17920
	ds_read_b128 v[45:48], v63 offset:15360
	;; [unrolled: 1-line block ×3, first 2 shown]
	ds_read_b128 v[65:68], v63
	v_and_b32_e32 v63, 63, v64
	v_lshrrev_b32_e32 v64, 8, v64
	v_and_b32_e32 v69, 0x3f0, v69
	v_and_b32_e32 v71, 63, v70
	v_add_u32_e32 v107, v70, v62
	v_lshrrev_b32_e32 v70, 8, v70
	v_and_b32_e32 v73, 0x3f0, v72
	v_lshl_add_u32 v63, v63, 4, 0
	v_and_b32_e32 v64, 0x3f0, v64
	v_add_u32_e32 v69, s0, v69
	v_lshl_add_u32 v81, v71, 4, 0
	v_and_b32_e32 v74, 63, v107
	v_lshrrev_b32_e32 v75, 2, v107
	v_and_b32_e32 v82, 0x3f0, v70
	v_add_u32_e32 v85, s0, v73
	v_add_u32_e32 v64, s0, v64
	ds_read_b128 v[69:72], v69 offset:1024
	v_lshl_add_u32 v109, v74, 4, 0
	v_and_b32_e32 v89, 0x3f0, v75
	ds_read_b128 v[73:76], v63 offset:20480
	ds_read_b128 v[77:80], v64 offset:2048
	v_add_u32_e32 v63, s0, v82
	ds_read_b128 v[81:84], v81 offset:20480
	ds_read_b128 v[85:88], v85 offset:1024
	v_add_u32_e32 v108, v107, v62
	v_and_b32_e32 v90, 63, v108
	v_add_u32_e32 v110, s0, v89
	v_lshl_add_u32 v94, v90, 4, 0
	ds_read_b128 v[89:92], v63 offset:2048
	s_waitcnt lgkmcnt(4)
	v_mul_f64 v[63:64], v[75:76], v[71:72]
	v_mul_f64 v[71:72], v[73:74], v[71:72]
	s_waitcnt lgkmcnt(1)
	v_mul_f64 v[101:102], v[83:84], v[87:88]
	v_mul_f64 v[87:88], v[81:82], v[87:88]
	v_lshrrev_b32_e32 v93, 2, v108
	v_and_b32_e32 v93, 0x3f0, v93
	v_add_u32_e32 v97, s0, v93
	ds_read_b128 v[93:96], v94 offset:20480
	ds_read_b128 v[97:100], v97 offset:1024
	v_fma_f64 v[63:64], v[73:74], v[69:70], -v[63:64]
	v_fma_f64 v[69:70], v[75:76], v[69:70], v[71:72]
	v_fma_f64 v[71:72], v[81:82], v[85:86], -v[101:102]
	v_fma_f64 v[73:74], v[83:84], v[85:86], v[87:88]
	s_waitcnt vmcnt(6)
	v_mul_f64 v[75:76], v[55:56], v[3:4]
	s_waitcnt vmcnt(5)
	v_mul_f64 v[81:82], v[31:32], v[27:28]
	v_mul_f64 v[27:28], v[29:30], v[27:28]
	s_waitcnt vmcnt(3)
	v_mul_f64 v[85:86], v[49:50], v[19:20]
	v_mul_f64 v[19:20], v[51:52], v[19:20]
	;; [unrolled: 1-line block ×3, first 2 shown]
	s_waitcnt vmcnt(2)
	v_mul_f64 v[87:88], v[33:34], v[15:16]
	v_mul_f64 v[15:16], v[35:36], v[15:16]
	;; [unrolled: 1-line block ×4, first 2 shown]
	s_waitcnt vmcnt(0)
	v_mul_f64 v[103:104], v[47:48], v[7:8]
	v_mul_f64 v[7:8], v[45:46], v[7:8]
	;; [unrolled: 1-line block ×4, first 2 shown]
	v_fma_f64 v[53:54], v[53:54], v[1:2], -v[75:76]
	v_fma_f64 v[75:76], v[29:30], v[25:26], -v[81:82]
	v_fma_f64 v[81:82], v[31:32], v[25:26], v[27:28]
	v_add_u32_e32 v25, v108, v62
	v_fma_f64 v[51:52], v[51:52], v[17:18], v[85:86]
	v_fma_f64 v[49:50], v[49:50], v[17:18], -v[19:20]
	v_and_b32_e32 v17, 63, v25
	v_lshl_add_u32 v26, v17, 4, 0
	v_lshrrev_b32_e32 v17, 2, v25
	v_add_u32_e32 v113, v25, v62
	v_fma_f64 v[55:56], v[55:56], v[1:2], v[3:4]
	v_fma_f64 v[85:86], v[35:36], v[13:14], v[87:88]
	v_fma_f64 v[87:88], v[33:34], v[13:14], -v[15:16]
	v_lshrrev_b32_e32 v1, 8, v107
	v_lshrrev_b32_e32 v13, 8, v108
	v_and_b32_e32 v17, 0x3f0, v17
	v_lshrrev_b32_e32 v18, 2, v113
	v_lshrrev_b32_e32 v25, 8, v25
	v_and_b32_e32 v1, 0x3f0, v1
	v_and_b32_e32 v13, 0x3f0, v13
	v_add_u32_e32 v33, s0, v17
	v_and_b32_e32 v17, 63, v113
	v_and_b32_e32 v18, 0x3f0, v18
	;; [unrolled: 1-line block ×3, first 2 shown]
	v_fma_f64 v[83:84], v[39:40], v[21:22], v[83:84]
	v_fma_f64 v[105:106], v[37:38], v[21:22], -v[23:24]
	v_fma_f64 v[45:46], v[45:46], v[5:6], -v[103:104]
	v_fma_f64 v[47:48], v[47:48], v[5:6], v[7:8]
	v_add_u32_e32 v5, s0, v1
	v_add_u32_e32 v13, s0, v13
	v_lshl_add_u32 v17, v17, 4, 0
	v_add_u32_e32 v21, s0, v18
	v_add_u32_e32 v29, s0, v25
	v_fma_f64 v[41:42], v[41:42], v[9:10], -v[101:102]
	v_fma_f64 v[43:44], v[43:44], v[9:10], v[11:12]
	ds_read_b128 v[1:4], v109 offset:20480
	ds_read_b128 v[5:8], v5 offset:2048
	;; [unrolled: 1-line block ×9, first 2 shown]
	s_waitcnt lgkmcnt(9)
	v_mul_f64 v[103:104], v[95:96], v[99:100]
	v_mul_f64 v[99:100], v[93:94], v[99:100]
	s_waitcnt lgkmcnt(6)
	v_mul_f64 v[101:102], v[3:4], v[11:12]
	s_waitcnt lgkmcnt(3)
	;; [unrolled: 2-line block ×3, first 2 shown]
	v_mul_f64 v[107:108], v[27:28], v[35:36]
	v_mul_f64 v[23:24], v[17:18], v[23:24]
	;; [unrolled: 1-line block ×4, first 2 shown]
	v_fma_f64 v[93:94], v[93:94], v[97:98], -v[103:104]
	v_fma_f64 v[95:96], v[95:96], v[97:98], v[99:100]
	v_fma_f64 v[101:102], v[1:2], v[9:10], -v[101:102]
	v_fma_f64 v[103:104], v[17:18], v[21:22], -v[109:110]
	;; [unrolled: 1-line block ×3, first 2 shown]
	v_fma_f64 v[107:108], v[19:20], v[21:22], v[23:24]
	v_mul_lo_u32 v23, v60, v59
	v_add_u32_e32 v21, v113, v62
	v_and_b32_e32 v1, 63, v21
	v_lshrrev_b32_e32 v37, 8, v113
	v_fma_f64 v[111:112], v[3:4], v[9:10], v[11:12]
	v_lshl_add_u32 v22, v1, 4, 0
	v_lshrrev_b32_e32 v1, 2, v21
	v_lshrrev_b32_e32 v10, 2, v23
	v_and_b32_e32 v37, 0x3f0, v37
	v_and_b32_e32 v1, 0x3f0, v1
	;; [unrolled: 1-line block ×4, first 2 shown]
	v_lshrrev_b32_e32 v23, 8, v23
	v_add_u32_e32 v37, s0, v37
	v_add_u32_e32 v1, s0, v1
	v_lshl_add_u32 v9, v9, 4, 0
	v_add_u32_e32 v17, s0, v10
	v_and_b32_e32 v23, 0x3f0, v23
	ds_read_b128 v[37:40], v37 offset:2048
	ds_read_b128 v[1:4], v1 offset:1024
	v_fma_f64 v[99:100], v[27:28], v[33:34], v[35:36]
	ds_read_b128 v[9:12], v9 offset:20480
	ds_read_b128 v[17:20], v17 offset:1024
	v_add_u32_e32 v33, s0, v23
	v_lshrrev_b32_e32 v25, 8, v21
	ds_read_b128 v[21:24], v22 offset:20480
	v_add_f64 v[51:52], v[83:84], -v[51:52]
	s_waitcnt lgkmcnt(1)
	v_mul_f64 v[113:114], v[11:12], v[19:20]
	v_mul_f64 v[19:20], v[9:10], v[19:20]
	v_add_f64 v[47:48], v[43:44], -v[47:48]
	s_waitcnt lgkmcnt(0)
	v_mul_f64 v[109:110], v[23:24], v[3:4]
	v_mul_f64 v[3:4], v[21:22], v[3:4]
	v_add_f64 v[49:50], v[105:106], -v[49:50]
	v_add_f64 v[45:46], v[41:42], -v[45:46]
	v_and_b32_e32 v25, 0x3f0, v25
	v_add_u32_e32 v25, s0, v25
	s_mov_b32 s0, 0x667f3bcd
	v_fma_f64 v[43:44], v[43:44], 2.0, -v[47:48]
	v_fma_f64 v[21:22], v[21:22], v[1:2], -v[109:110]
	v_fma_f64 v[23:24], v[23:24], v[1:2], v[3:4]
	v_fma_f64 v[109:110], v[9:10], v[17:18], -v[113:114]
	v_fma_f64 v[17:18], v[11:12], v[17:18], v[19:20]
	v_mul_f64 v[1:2], v[69:70], v[79:80]
	v_mul_f64 v[3:4], v[63:64], v[79:80]
	;; [unrolled: 1-line block ×8, first 2 shown]
	v_fma_f64 v[1:2], v[77:78], v[63:64], -v[1:2]
	v_fma_f64 v[3:4], v[77:78], v[69:70], v[3:4]
	v_fma_f64 v[9:10], v[89:90], v[71:72], -v[9:10]
	v_fma_f64 v[11:12], v[89:90], v[73:74], v[11:12]
	;; [unrolled: 2-line block ×4, first 2 shown]
	v_mul_f64 v[13:14], v[99:100], v[31:32]
	v_mul_f64 v[15:16], v[97:98], v[31:32]
	v_add_f64 v[31:32], v[53:54], -v[75:76]
	v_add_f64 v[69:70], v[67:68], -v[85:86]
	v_add_f64 v[71:72], v[65:66], -v[87:88]
	v_add_f64 v[73:74], v[55:56], -v[81:82]
	v_mul_f64 v[75:76], v[103:104], v[39:40]
	v_mul_f64 v[39:40], v[107:108], v[39:40]
	v_fma_f64 v[77:78], v[29:30], v[97:98], -v[13:14]
	v_fma_f64 v[29:30], v[29:30], v[99:100], v[15:16]
	v_add_f64 v[13:14], v[31:32], -v[51:52]
	v_add_f64 v[81:82], v[69:70], v[45:46]
	v_add_f64 v[15:16], v[71:72], -v[47:48]
	v_add_f64 v[79:80], v[73:74], v[49:50]
	v_fma_f64 v[47:48], v[105:106], 2.0, -v[49:50]
	v_fma_f64 v[49:50], v[67:68], 2.0, -v[69:70]
	;; [unrolled: 1-line block ×7, first 2 shown]
	s_mov_b32 s1, 0x3fe6a09e
	v_fma_f64 v[75:76], v[37:38], v[107:108], v[75:76]
	v_fma_f64 v[37:38], v[37:38], v[103:104], -v[39:40]
	v_fma_f64 v[39:40], v[13:14], s[0:1], v[15:16]
	v_fma_f64 v[85:86], v[79:80], s[0:1], v[81:82]
	v_fma_f64 v[31:32], v[31:32], 2.0, -v[13:14]
	v_fma_f64 v[55:56], v[73:74], 2.0, -v[79:80]
	;; [unrolled: 1-line block ×4, first 2 shown]
	v_add_f64 v[47:48], v[53:54], -v[47:48]
	v_add_f64 v[43:44], v[49:50], -v[43:44]
	;; [unrolled: 1-line block ×4, first 2 shown]
	s_mov_b32 s2, s0
	v_fma_f64 v[39:40], v[79:80], s[2:3], v[39:40]
	v_fma_f64 v[70:71], v[13:14], s[0:1], v[85:86]
	;; [unrolled: 1-line block ×4, first 2 shown]
	v_fma_f64 v[53:54], v[53:54], 2.0, -v[47:48]
	v_fma_f64 v[49:50], v[49:50], 2.0, -v[43:44]
	v_fma_f64 v[64:65], v[64:65], 2.0, -v[41:42]
	v_fma_f64 v[51:52], v[51:52], 2.0, -v[45:46]
	v_add_f64 v[45:46], v[41:42], -v[45:46]
	v_add_f64 v[47:48], v[43:44], v[47:48]
	v_fma_f64 v[55:56], v[55:56], s[2:3], v[13:14]
	v_fma_f64 v[31:32], v[31:32], s[0:1], v[72:73]
	v_mul_f64 v[13:14], v[39:40], v[3:4]
	v_mul_f64 v[72:73], v[70:71], v[3:4]
	v_add_f64 v[53:54], v[64:65], -v[53:54]
	v_add_f64 v[51:52], v[49:50], -v[51:52]
	v_mul_f64 v[79:80], v[45:46], v[11:12]
	v_mul_f64 v[11:12], v[47:48], v[11:12]
	;; [unrolled: 1-line block ×4, first 2 shown]
	v_fma_f64 v[3:4], v[70:71], v[1:2], v[13:14]
	v_fma_f64 v[1:2], v[39:40], v[1:2], -v[72:73]
	v_mul_f64 v[13:14], v[53:54], v[7:8]
	v_mul_f64 v[72:73], v[51:52], v[7:8]
	v_fma_f64 v[39:40], v[15:16], 2.0, -v[39:40]
	ds_read_b128 v[25:28], v25 offset:2048
	ds_read_b128 v[33:36], v33 offset:2048
	v_fma_f64 v[7:8], v[47:48], v[9:10], v[79:80]
	v_fma_f64 v[5:6], v[45:46], v[9:10], -v[11:12]
	v_fma_f64 v[11:12], v[31:32], v[19:20], v[83:84]
	v_fma_f64 v[9:10], v[55:56], v[19:20], -v[85:86]
	;; [unrolled: 2-line block ×3, first 2 shown]
	v_fma_f64 v[62:63], v[81:82], 2.0, -v[70:71]
	s_waitcnt lgkmcnt(1)
	v_mul_f64 v[19:20], v[21:22], v[27:28]
	v_fma_f64 v[41:42], v[41:42], 2.0, -v[45:46]
	v_mul_f64 v[45:46], v[39:40], v[29:30]
	v_fma_f64 v[43:44], v[43:44], 2.0, -v[47:48]
	v_fma_f64 v[47:48], v[66:67], 2.0, -v[55:56]
	v_mul_f64 v[27:28], v[23:24], v[27:28]
	s_load_dwordx2 s[0:1], s[6:7], 0x0
	v_mul_f64 v[29:30], v[62:63], v[29:30]
	v_fma_f64 v[23:24], v[25:26], v[23:24], v[19:20]
	v_fma_f64 v[31:32], v[68:69], 2.0, -v[31:32]
	v_fma_f64 v[19:20], v[62:63], v[77:78], v[45:46]
	s_waitcnt lgkmcnt(0)
	v_mul_f64 v[45:46], v[109:110], v[35:36]
	v_mul_f64 v[35:36], v[17:18], v[35:36]
	v_fma_f64 v[25:26], v[25:26], v[21:22], -v[27:28]
	v_fma_f64 v[53:54], v[64:65], 2.0, -v[53:54]
	v_mul_f64 v[55:56], v[41:42], v[75:76]
	v_mul_f64 v[27:28], v[47:48], v[23:24]
	;; [unrolled: 1-line block ×3, first 2 shown]
	s_mul_i32 s1, s1, s8
	v_fma_f64 v[45:46], v[33:34], v[17:18], v[45:46]
	v_fma_f64 v[17:18], v[39:40], v[77:78], -v[29:30]
	v_fma_f64 v[29:30], v[49:50], 2.0, -v[51:52]
	s_mul_hi_u32 s2, s0, s8
	s_add_i32 s1, s2, s1
	s_mov_b32 s2, 0x199999a
	v_mul_hi_u32 v0, v0, s2
	v_mul_f64 v[66:67], v[31:32], v[23:24]
	v_fma_f64 v[27:28], v[31:32], v[25:26], v[27:28]
	v_fma_f64 v[33:34], v[33:34], v[109:110], -v[35:36]
	v_mul_f64 v[31:32], v[53:54], v[45:46]
	v_mul_f64 v[35:36], v[29:30], v[45:46]
	v_fma_f64 v[23:24], v[43:44], v[37:38], v[55:56]
	v_fma_f64 v[21:22], v[41:42], v[37:38], -v[62:63]
	v_mad_u64_u32 v[37:38], s[2:3], s22, v61, 0
	v_mul_u32_u24_e32 v0, 0x50, v0
	v_or_b32_e32 v44, v0, v60
	v_mad_u64_u32 v[39:40], s[2:3], s20, v44, 0
	v_mov_b32_e32 v0, v38
	s_mul_i32 s0, s0, s8
	v_mad_u64_u32 v[41:42], s[2:3], s23, v61, v[0:1]
	s_lshl_b64 s[0:1], s[0:1], 4
	v_mov_b32_e32 v0, v40
	v_fma_f64 v[31:32], v[29:30], v[33:34], v[31:32]
	v_fma_f64 v[29:30], v[53:54], v[33:34], -v[35:36]
	s_add_u32 s0, s18, s0
	v_lshlrev_b64 v[33:34], 4, v[57:58]
	v_mad_u64_u32 v[42:43], s[2:3], s21, v44, v[0:1]
	s_addc_u32 s1, s19, s1
	v_mov_b32_e32 v38, v41
	v_mov_b32_e32 v0, s1
	v_add_co_u32_e32 v41, vcc, s0, v33
	v_addc_co_u32_e32 v0, vcc, v0, v34, vcc
	v_lshlrev_b64 v[33:34], 4, v[37:38]
	v_mov_b32_e32 v40, v42
	v_add_co_u32_e32 v38, vcc, v41, v33
	v_add_u32_e32 v37, 10, v44
	v_addc_co_u32_e32 v41, vcc, v0, v34, vcc
	v_lshlrev_b64 v[33:34], 4, v[39:40]
	v_mad_u64_u32 v[35:36], s[0:1], s20, v37, 0
	v_add_co_u32_e32 v33, vcc, v38, v33
	v_addc_co_u32_e32 v34, vcc, v41, v34, vcc
	global_store_dwordx4 v[33:34], v[29:32], off
	v_add_u32_e32 v33, 20, v44
	v_mov_b32_e32 v0, v36
	v_mad_u64_u32 v[31:32], s[0:1], s20, v33, 0
	v_fma_f64 v[25:26], v[47:48], v[25:26], -v[66:67]
	v_mad_u64_u32 v[36:37], s[0:1], s21, v37, v[0:1]
	v_mov_b32_e32 v0, v32
	v_mad_u64_u32 v[32:33], s[0:1], s21, v33, v[0:1]
	v_lshlrev_b64 v[29:30], 4, v[35:36]
	v_add_u32_e32 v35, 30, v44
	v_add_co_u32_e32 v29, vcc, v38, v29
	v_addc_co_u32_e32 v30, vcc, v41, v30, vcc
	v_mad_u64_u32 v[33:34], s[0:1], s20, v35, 0
	global_store_dwordx4 v[29:30], v[25:28], off
	v_mov_b32_e32 v0, v34
	v_lshlrev_b64 v[25:26], 4, v[31:32]
	v_mad_u64_u32 v[27:28], s[0:1], s21, v35, v[0:1]
	v_add_co_u32_e32 v25, vcc, v38, v25
	v_addc_co_u32_e32 v26, vcc, v41, v26, vcc
	global_store_dwordx4 v[25:26], v[21:24], off
	v_add_u32_e32 v25, 40, v44
	v_mad_u64_u32 v[23:24], s[0:1], s20, v25, 0
	v_mov_b32_e32 v34, v27
	v_lshlrev_b64 v[21:22], 4, v[33:34]
	v_mov_b32_e32 v0, v24
	v_mad_u64_u32 v[24:25], s[0:1], s21, v25, v[0:1]
	v_add_co_u32_e32 v21, vcc, v38, v21
	v_addc_co_u32_e32 v22, vcc, v41, v22, vcc
	v_add_u32_e32 v27, 50, v44
	global_store_dwordx4 v[21:22], v[17:20], off
	v_mad_u64_u32 v[25:26], s[0:1], s20, v27, 0
	v_lshlrev_b64 v[17:18], 4, v[23:24]
	v_add_co_u32_e32 v17, vcc, v38, v17
	v_addc_co_u32_e32 v18, vcc, v41, v18, vcc
	global_store_dwordx4 v[17:18], v[13:16], off
	v_add_u32_e32 v17, 60, v44
	v_mov_b32_e32 v0, v26
	v_mad_u64_u32 v[15:16], s[0:1], s20, v17, 0
	v_mad_u64_u32 v[19:20], s[0:1], s21, v27, v[0:1]
	v_mov_b32_e32 v0, v16
	v_mad_u64_u32 v[16:17], s[0:1], s21, v17, v[0:1]
	v_mov_b32_e32 v26, v19
	v_add_u32_e32 v19, 0x46, v44
	v_mad_u64_u32 v[17:18], s[0:1], s20, v19, 0
	v_lshlrev_b64 v[13:14], 4, v[25:26]
	v_add_co_u32_e32 v13, vcc, v38, v13
	v_addc_co_u32_e32 v14, vcc, v41, v14, vcc
	v_mov_b32_e32 v0, v18
	global_store_dwordx4 v[13:14], v[9:12], off
	s_nop 0
	v_mad_u64_u32 v[11:12], s[0:1], s21, v19, v[0:1]
	v_lshlrev_b64 v[9:10], 4, v[15:16]
	v_add_co_u32_e32 v9, vcc, v38, v9
	v_addc_co_u32_e32 v10, vcc, v41, v10, vcc
	v_mov_b32_e32 v18, v11
	global_store_dwordx4 v[9:10], v[5:8], off
	s_nop 0
	v_lshlrev_b64 v[5:6], 4, v[17:18]
	v_add_co_u32_e32 v5, vcc, v38, v5
	v_addc_co_u32_e32 v6, vcc, v41, v6, vcc
	global_store_dwordx4 v[5:6], v[1:4], off
.LBB0_22:
	s_endpgm
	.section	.rodata,"a",@progbits
	.p2align	6, 0x0
	.amdhsa_kernel fft_rtc_fwd_len80_factors_10_8_wgs_160_tpt_10_dp_op_CI_CI_sbcc_twdbase6_3step_dirReg
		.amdhsa_group_segment_fixed_size 0
		.amdhsa_private_segment_fixed_size 0
		.amdhsa_kernarg_size 112
		.amdhsa_user_sgpr_count 6
		.amdhsa_user_sgpr_private_segment_buffer 1
		.amdhsa_user_sgpr_dispatch_ptr 0
		.amdhsa_user_sgpr_queue_ptr 0
		.amdhsa_user_sgpr_kernarg_segment_ptr 1
		.amdhsa_user_sgpr_dispatch_id 0
		.amdhsa_user_sgpr_flat_scratch_init 0
		.amdhsa_user_sgpr_private_segment_size 0
		.amdhsa_uses_dynamic_stack 0
		.amdhsa_system_sgpr_private_segment_wavefront_offset 0
		.amdhsa_system_sgpr_workgroup_id_x 1
		.amdhsa_system_sgpr_workgroup_id_y 0
		.amdhsa_system_sgpr_workgroup_id_z 0
		.amdhsa_system_sgpr_workgroup_info 0
		.amdhsa_system_vgpr_workitem_id 0
		.amdhsa_next_free_vgpr 115
		.amdhsa_next_free_sgpr 51
		.amdhsa_reserve_vcc 1
		.amdhsa_reserve_flat_scratch 0
		.amdhsa_float_round_mode_32 0
		.amdhsa_float_round_mode_16_64 0
		.amdhsa_float_denorm_mode_32 3
		.amdhsa_float_denorm_mode_16_64 3
		.amdhsa_dx10_clamp 1
		.amdhsa_ieee_mode 1
		.amdhsa_fp16_overflow 0
		.amdhsa_exception_fp_ieee_invalid_op 0
		.amdhsa_exception_fp_denorm_src 0
		.amdhsa_exception_fp_ieee_div_zero 0
		.amdhsa_exception_fp_ieee_overflow 0
		.amdhsa_exception_fp_ieee_underflow 0
		.amdhsa_exception_fp_ieee_inexact 0
		.amdhsa_exception_int_div_zero 0
	.end_amdhsa_kernel
	.text
.Lfunc_end0:
	.size	fft_rtc_fwd_len80_factors_10_8_wgs_160_tpt_10_dp_op_CI_CI_sbcc_twdbase6_3step_dirReg, .Lfunc_end0-fft_rtc_fwd_len80_factors_10_8_wgs_160_tpt_10_dp_op_CI_CI_sbcc_twdbase6_3step_dirReg
                                        ; -- End function
	.section	.AMDGPU.csdata,"",@progbits
; Kernel info:
; codeLenInByte = 7112
; NumSgprs: 55
; NumVgprs: 115
; ScratchSize: 0
; MemoryBound: 1
; FloatMode: 240
; IeeeMode: 1
; LDSByteSize: 0 bytes/workgroup (compile time only)
; SGPRBlocks: 6
; VGPRBlocks: 28
; NumSGPRsForWavesPerEU: 55
; NumVGPRsForWavesPerEU: 115
; Occupancy: 2
; WaveLimiterHint : 1
; COMPUTE_PGM_RSRC2:SCRATCH_EN: 0
; COMPUTE_PGM_RSRC2:USER_SGPR: 6
; COMPUTE_PGM_RSRC2:TRAP_HANDLER: 0
; COMPUTE_PGM_RSRC2:TGID_X_EN: 1
; COMPUTE_PGM_RSRC2:TGID_Y_EN: 0
; COMPUTE_PGM_RSRC2:TGID_Z_EN: 0
; COMPUTE_PGM_RSRC2:TIDIG_COMP_CNT: 0
	.type	__hip_cuid_41b28496b9191daf,@object ; @__hip_cuid_41b28496b9191daf
	.section	.bss,"aw",@nobits
	.globl	__hip_cuid_41b28496b9191daf
__hip_cuid_41b28496b9191daf:
	.byte	0                               ; 0x0
	.size	__hip_cuid_41b28496b9191daf, 1

	.ident	"AMD clang version 19.0.0git (https://github.com/RadeonOpenCompute/llvm-project roc-6.4.0 25133 c7fe45cf4b819c5991fe208aaa96edf142730f1d)"
	.section	".note.GNU-stack","",@progbits
	.addrsig
	.addrsig_sym __hip_cuid_41b28496b9191daf
	.amdgpu_metadata
---
amdhsa.kernels:
  - .args:
      - .actual_access:  read_only
        .address_space:  global
        .offset:         0
        .size:           8
        .value_kind:     global_buffer
      - .address_space:  global
        .offset:         8
        .size:           8
        .value_kind:     global_buffer
      - .offset:         16
        .size:           8
        .value_kind:     by_value
      - .actual_access:  read_only
        .address_space:  global
        .offset:         24
        .size:           8
        .value_kind:     global_buffer
      - .actual_access:  read_only
        .address_space:  global
        .offset:         32
        .size:           8
        .value_kind:     global_buffer
      - .actual_access:  read_only
        .address_space:  global
        .offset:         40
        .size:           8
        .value_kind:     global_buffer
      - .offset:         48
        .size:           8
        .value_kind:     by_value
      - .actual_access:  read_only
        .address_space:  global
        .offset:         56
        .size:           8
        .value_kind:     global_buffer
      - .actual_access:  read_only
        .address_space:  global
        .offset:         64
        .size:           8
        .value_kind:     global_buffer
      - .offset:         72
        .size:           4
        .value_kind:     by_value
      - .actual_access:  read_only
        .address_space:  global
        .offset:         80
        .size:           8
        .value_kind:     global_buffer
      - .actual_access:  read_only
        .address_space:  global
        .offset:         88
        .size:           8
        .value_kind:     global_buffer
      - .actual_access:  read_only
        .address_space:  global
        .offset:         96
        .size:           8
        .value_kind:     global_buffer
      - .actual_access:  write_only
        .address_space:  global
        .offset:         104
        .size:           8
        .value_kind:     global_buffer
    .group_segment_fixed_size: 0
    .kernarg_segment_align: 8
    .kernarg_segment_size: 112
    .language:       OpenCL C
    .language_version:
      - 2
      - 0
    .max_flat_workgroup_size: 160
    .name:           fft_rtc_fwd_len80_factors_10_8_wgs_160_tpt_10_dp_op_CI_CI_sbcc_twdbase6_3step_dirReg
    .private_segment_fixed_size: 0
    .sgpr_count:     55
    .sgpr_spill_count: 0
    .symbol:         fft_rtc_fwd_len80_factors_10_8_wgs_160_tpt_10_dp_op_CI_CI_sbcc_twdbase6_3step_dirReg.kd
    .uniform_work_group_size: 1
    .uses_dynamic_stack: false
    .vgpr_count:     115
    .vgpr_spill_count: 0
    .wavefront_size: 64
amdhsa.target:   amdgcn-amd-amdhsa--gfx906
amdhsa.version:
  - 1
  - 2
...

	.end_amdgpu_metadata
